;; amdgpu-corpus repo=ROCm/rocFFT kind=compiled arch=gfx1030 opt=O3
	.text
	.amdgcn_target "amdgcn-amd-amdhsa--gfx1030"
	.amdhsa_code_object_version 6
	.protected	fft_rtc_back_len2304_factors_6_6_4_4_4_wgs_192_tpt_192_halfLds_sp_op_CI_CI_unitstride_sbrr_C2R_dirReg ; -- Begin function fft_rtc_back_len2304_factors_6_6_4_4_4_wgs_192_tpt_192_halfLds_sp_op_CI_CI_unitstride_sbrr_C2R_dirReg
	.globl	fft_rtc_back_len2304_factors_6_6_4_4_4_wgs_192_tpt_192_halfLds_sp_op_CI_CI_unitstride_sbrr_C2R_dirReg
	.p2align	8
	.type	fft_rtc_back_len2304_factors_6_6_4_4_4_wgs_192_tpt_192_halfLds_sp_op_CI_CI_unitstride_sbrr_C2R_dirReg,@function
fft_rtc_back_len2304_factors_6_6_4_4_4_wgs_192_tpt_192_halfLds_sp_op_CI_CI_unitstride_sbrr_C2R_dirReg: ; @fft_rtc_back_len2304_factors_6_6_4_4_4_wgs_192_tpt_192_halfLds_sp_op_CI_CI_unitstride_sbrr_C2R_dirReg
; %bb.0:
	s_clause 0x2
	s_load_dwordx4 s[12:15], s[4:5], 0x0
	s_load_dwordx4 s[8:11], s[4:5], 0x58
	;; [unrolled: 1-line block ×3, first 2 shown]
	v_mul_u32_u24_e32 v1, 0x156, v0
	v_mov_b32_e32 v3, 0
	v_mov_b32_e32 v7, 0
	;; [unrolled: 1-line block ×3, first 2 shown]
	v_add_nc_u32_sdwa v9, s6, v1 dst_sel:DWORD dst_unused:UNUSED_PAD src0_sel:DWORD src1_sel:WORD_1
	v_mov_b32_e32 v10, v3
	s_waitcnt lgkmcnt(0)
	v_cmp_lt_u64_e64 s0, s[14:15], 2
	s_and_b32 vcc_lo, exec_lo, s0
	s_cbranch_vccnz .LBB0_8
; %bb.1:
	s_load_dwordx2 s[0:1], s[4:5], 0x10
	v_mov_b32_e32 v7, 0
	v_mov_b32_e32 v8, 0
	s_add_u32 s2, s18, 8
	s_addc_u32 s3, s19, 0
	v_mov_b32_e32 v1, v7
	s_add_u32 s6, s16, 8
	v_mov_b32_e32 v2, v8
	s_addc_u32 s7, s17, 0
	s_mov_b64 s[22:23], 1
	s_waitcnt lgkmcnt(0)
	s_add_u32 s20, s0, 8
	s_addc_u32 s21, s1, 0
.LBB0_2:                                ; =>This Inner Loop Header: Depth=1
	s_load_dwordx2 s[24:25], s[20:21], 0x0
                                        ; implicit-def: $vgpr5_vgpr6
	s_mov_b32 s0, exec_lo
	s_waitcnt lgkmcnt(0)
	v_or_b32_e32 v4, s25, v10
	v_cmpx_ne_u64_e32 0, v[3:4]
	s_xor_b32 s1, exec_lo, s0
	s_cbranch_execz .LBB0_4
; %bb.3:                                ;   in Loop: Header=BB0_2 Depth=1
	v_cvt_f32_u32_e32 v4, s24
	v_cvt_f32_u32_e32 v5, s25
	s_sub_u32 s0, 0, s24
	s_subb_u32 s26, 0, s25
	v_fmac_f32_e32 v4, 0x4f800000, v5
	v_rcp_f32_e32 v4, v4
	v_mul_f32_e32 v4, 0x5f7ffffc, v4
	v_mul_f32_e32 v5, 0x2f800000, v4
	v_trunc_f32_e32 v5, v5
	v_fmac_f32_e32 v4, 0xcf800000, v5
	v_cvt_u32_f32_e32 v5, v5
	v_cvt_u32_f32_e32 v4, v4
	v_mul_lo_u32 v6, s0, v5
	v_mul_hi_u32 v11, s0, v4
	v_mul_lo_u32 v12, s26, v4
	v_add_nc_u32_e32 v6, v11, v6
	v_mul_lo_u32 v11, s0, v4
	v_add_nc_u32_e32 v6, v6, v12
	v_mul_hi_u32 v12, v4, v11
	v_mul_lo_u32 v13, v4, v6
	v_mul_hi_u32 v14, v4, v6
	v_mul_hi_u32 v15, v5, v11
	v_mul_lo_u32 v11, v5, v11
	v_mul_hi_u32 v16, v5, v6
	v_mul_lo_u32 v6, v5, v6
	v_add_co_u32 v12, vcc_lo, v12, v13
	v_add_co_ci_u32_e32 v13, vcc_lo, 0, v14, vcc_lo
	v_add_co_u32 v11, vcc_lo, v12, v11
	v_add_co_ci_u32_e32 v11, vcc_lo, v13, v15, vcc_lo
	v_add_co_ci_u32_e32 v12, vcc_lo, 0, v16, vcc_lo
	v_add_co_u32 v6, vcc_lo, v11, v6
	v_add_co_ci_u32_e32 v11, vcc_lo, 0, v12, vcc_lo
	v_add_co_u32 v4, vcc_lo, v4, v6
	v_add_co_ci_u32_e32 v5, vcc_lo, v5, v11, vcc_lo
	v_mul_hi_u32 v6, s0, v4
	v_mul_lo_u32 v12, s26, v4
	v_mul_lo_u32 v11, s0, v5
	v_add_nc_u32_e32 v6, v6, v11
	v_mul_lo_u32 v11, s0, v4
	v_add_nc_u32_e32 v6, v6, v12
	v_mul_hi_u32 v12, v4, v11
	v_mul_lo_u32 v13, v4, v6
	v_mul_hi_u32 v14, v4, v6
	v_mul_hi_u32 v15, v5, v11
	v_mul_lo_u32 v11, v5, v11
	v_mul_hi_u32 v16, v5, v6
	v_mul_lo_u32 v6, v5, v6
	v_add_co_u32 v12, vcc_lo, v12, v13
	v_add_co_ci_u32_e32 v13, vcc_lo, 0, v14, vcc_lo
	v_add_co_u32 v11, vcc_lo, v12, v11
	v_add_co_ci_u32_e32 v11, vcc_lo, v13, v15, vcc_lo
	v_add_co_ci_u32_e32 v12, vcc_lo, 0, v16, vcc_lo
	v_add_co_u32 v6, vcc_lo, v11, v6
	v_add_co_ci_u32_e32 v11, vcc_lo, 0, v12, vcc_lo
	v_add_co_u32 v6, vcc_lo, v4, v6
	v_add_co_ci_u32_e32 v13, vcc_lo, v5, v11, vcc_lo
	v_mul_hi_u32 v15, v9, v6
	v_mad_u64_u32 v[11:12], null, v10, v6, 0
	v_mad_u64_u32 v[4:5], null, v9, v13, 0
	;; [unrolled: 1-line block ×3, first 2 shown]
	v_add_co_u32 v4, vcc_lo, v15, v4
	v_add_co_ci_u32_e32 v5, vcc_lo, 0, v5, vcc_lo
	v_add_co_u32 v4, vcc_lo, v4, v11
	v_add_co_ci_u32_e32 v4, vcc_lo, v5, v12, vcc_lo
	v_add_co_ci_u32_e32 v5, vcc_lo, 0, v14, vcc_lo
	v_add_co_u32 v11, vcc_lo, v4, v13
	v_add_co_ci_u32_e32 v6, vcc_lo, 0, v5, vcc_lo
	v_mul_lo_u32 v12, s25, v11
	v_mad_u64_u32 v[4:5], null, s24, v11, 0
	v_mul_lo_u32 v13, s24, v6
	v_sub_co_u32 v4, vcc_lo, v9, v4
	v_add3_u32 v5, v5, v13, v12
	v_sub_nc_u32_e32 v12, v10, v5
	v_subrev_co_ci_u32_e64 v12, s0, s25, v12, vcc_lo
	v_add_co_u32 v13, s0, v11, 2
	v_add_co_ci_u32_e64 v14, s0, 0, v6, s0
	v_sub_co_u32 v15, s0, v4, s24
	v_sub_co_ci_u32_e32 v5, vcc_lo, v10, v5, vcc_lo
	v_subrev_co_ci_u32_e64 v12, s0, 0, v12, s0
	v_cmp_le_u32_e32 vcc_lo, s24, v15
	v_cmp_eq_u32_e64 s0, s25, v5
	v_cndmask_b32_e64 v15, 0, -1, vcc_lo
	v_cmp_le_u32_e32 vcc_lo, s25, v12
	v_cndmask_b32_e64 v16, 0, -1, vcc_lo
	v_cmp_le_u32_e32 vcc_lo, s24, v4
	;; [unrolled: 2-line block ×3, first 2 shown]
	v_cndmask_b32_e64 v17, 0, -1, vcc_lo
	v_cmp_eq_u32_e32 vcc_lo, s25, v12
	v_cndmask_b32_e64 v4, v17, v4, s0
	v_cndmask_b32_e32 v12, v16, v15, vcc_lo
	v_add_co_u32 v15, vcc_lo, v11, 1
	v_add_co_ci_u32_e32 v16, vcc_lo, 0, v6, vcc_lo
	v_cmp_ne_u32_e32 vcc_lo, 0, v12
	v_cndmask_b32_e32 v5, v16, v14, vcc_lo
	v_cndmask_b32_e32 v12, v15, v13, vcc_lo
	v_cmp_ne_u32_e32 vcc_lo, 0, v4
	v_cndmask_b32_e32 v6, v6, v5, vcc_lo
	v_cndmask_b32_e32 v5, v11, v12, vcc_lo
.LBB0_4:                                ;   in Loop: Header=BB0_2 Depth=1
	s_andn2_saveexec_b32 s0, s1
	s_cbranch_execz .LBB0_6
; %bb.5:                                ;   in Loop: Header=BB0_2 Depth=1
	v_cvt_f32_u32_e32 v4, s24
	s_sub_i32 s1, 0, s24
	v_rcp_iflag_f32_e32 v4, v4
	v_mul_f32_e32 v4, 0x4f7ffffe, v4
	v_cvt_u32_f32_e32 v4, v4
	v_mul_lo_u32 v5, s1, v4
	v_mul_hi_u32 v5, v4, v5
	v_add_nc_u32_e32 v4, v4, v5
	v_mul_hi_u32 v4, v9, v4
	v_mul_lo_u32 v5, v4, s24
	v_add_nc_u32_e32 v6, 1, v4
	v_sub_nc_u32_e32 v5, v9, v5
	v_subrev_nc_u32_e32 v11, s24, v5
	v_cmp_le_u32_e32 vcc_lo, s24, v5
	v_cndmask_b32_e32 v5, v5, v11, vcc_lo
	v_cndmask_b32_e32 v4, v4, v6, vcc_lo
	v_cmp_le_u32_e32 vcc_lo, s24, v5
	v_add_nc_u32_e32 v6, 1, v4
	v_cndmask_b32_e32 v5, v4, v6, vcc_lo
	v_mov_b32_e32 v6, v3
.LBB0_6:                                ;   in Loop: Header=BB0_2 Depth=1
	s_or_b32 exec_lo, exec_lo, s0
	v_mul_lo_u32 v4, v6, s24
	v_mul_lo_u32 v13, v5, s25
	s_load_dwordx2 s[0:1], s[6:7], 0x0
	v_mad_u64_u32 v[11:12], null, v5, s24, 0
	s_load_dwordx2 s[24:25], s[2:3], 0x0
	s_add_u32 s22, s22, 1
	s_addc_u32 s23, s23, 0
	s_add_u32 s2, s2, 8
	s_addc_u32 s3, s3, 0
	s_add_u32 s6, s6, 8
	v_add3_u32 v4, v12, v13, v4
	v_sub_co_u32 v9, vcc_lo, v9, v11
	s_addc_u32 s7, s7, 0
	s_add_u32 s20, s20, 8
	v_sub_co_ci_u32_e32 v4, vcc_lo, v10, v4, vcc_lo
	s_addc_u32 s21, s21, 0
	s_waitcnt lgkmcnt(0)
	v_mul_lo_u32 v10, s0, v4
	v_mul_lo_u32 v11, s1, v9
	v_mad_u64_u32 v[7:8], null, s0, v9, v[7:8]
	v_mul_lo_u32 v4, s24, v4
	v_mul_lo_u32 v12, s25, v9
	v_mad_u64_u32 v[1:2], null, s24, v9, v[1:2]
	v_cmp_ge_u64_e64 s0, s[22:23], s[14:15]
	v_add3_u32 v8, v11, v8, v10
	v_add3_u32 v2, v12, v2, v4
	s_and_b32 vcc_lo, exec_lo, s0
	s_cbranch_vccnz .LBB0_9
; %bb.7:                                ;   in Loop: Header=BB0_2 Depth=1
	v_mov_b32_e32 v10, v6
	v_mov_b32_e32 v9, v5
	s_branch .LBB0_2
.LBB0_8:
	v_mov_b32_e32 v1, v7
	v_mov_b32_e32 v5, v9
	;; [unrolled: 1-line block ×4, first 2 shown]
.LBB0_9:
	s_load_dwordx2 s[0:1], s[4:5], 0x28
	v_mul_hi_u32 v4, 0x1555556, v0
	s_lshl_b64 s[4:5], s[14:15], 3
                                        ; implicit-def: $vgpr3
	s_add_u32 s2, s18, s4
	s_addc_u32 s3, s19, s5
	s_waitcnt lgkmcnt(0)
	v_cmp_gt_u64_e32 vcc_lo, s[0:1], v[5:6]
	v_cmp_le_u64_e64 s0, s[0:1], v[5:6]
	s_and_saveexec_b32 s1, s0
	s_xor_b32 s0, exec_lo, s1
; %bb.10:
	v_mul_u32_u24_e32 v3, 0xc0, v4
                                        ; implicit-def: $vgpr4
                                        ; implicit-def: $vgpr7_vgpr8
	v_sub_nc_u32_e32 v3, v0, v3
                                        ; implicit-def: $vgpr0
; %bb.11:
	s_or_saveexec_b32 s1, s0
	s_load_dwordx2 s[2:3], s[2:3], 0x0
	s_xor_b32 exec_lo, exec_lo, s1
	s_cbranch_execz .LBB0_15
; %bb.12:
	s_add_u32 s4, s16, s4
	s_addc_u32 s5, s17, s5
	v_mul_u32_u24_e32 v4, 0xc0, v4
	s_load_dwordx2 s[4:5], s[4:5], 0x0
	v_lshlrev_b64 v[7:8], 3, v[7:8]
	s_waitcnt lgkmcnt(0)
	v_mul_lo_u32 v3, s5, v5
	v_mul_lo_u32 v11, s4, v6
	v_mad_u64_u32 v[9:10], null, s4, v5, 0
	s_mov_b32 s4, exec_lo
	v_add3_u32 v10, v10, v11, v3
	v_sub_nc_u32_e32 v3, v0, v4
	v_lshlrev_b64 v[9:10], 3, v[9:10]
	v_lshlrev_b32_e32 v31, 3, v3
	v_or_b32_e32 v11, 0x3000, v31
	v_add_co_u32 v0, s0, s8, v9
	v_add_co_ci_u32_e64 v4, s0, s9, v10, s0
	v_or_b32_e32 v9, 0x1800, v31
	v_add_co_u32 v0, s0, v0, v7
	v_add_co_ci_u32_e64 v4, s0, v4, v8, s0
	v_add_co_u32 v7, s0, v0, v31
	v_add_co_ci_u32_e64 v8, s0, 0, v4, s0
	;; [unrolled: 2-line block ×11, first 2 shown]
	s_clause 0x3
	global_load_dwordx2 v[25:26], v[7:8], off
	global_load_dwordx2 v[27:28], v[7:8], off offset:1536
	global_load_dwordx2 v[13:14], v[13:14], off offset:1024
	;; [unrolled: 1-line block ×3, first 2 shown]
	v_add_co_u32 v7, s0, 0x4000, v7
	v_add_co_ci_u32_e64 v8, s0, 0, v8, s0
	s_clause 0x7
	global_load_dwordx2 v[9:10], v[9:10], off
	global_load_dwordx2 v[17:18], v[17:18], off offset:1536
	global_load_dwordx2 v[19:20], v[19:20], off offset:1024
	;; [unrolled: 1-line block ×3, first 2 shown]
	global_load_dwordx2 v[11:12], v[11:12], off
	global_load_dwordx2 v[23:24], v[23:24], off offset:1536
	global_load_dwordx2 v[29:30], v[29:30], off offset:1024
	;; [unrolled: 1-line block ×3, first 2 shown]
	v_add_nc_u32_e32 v31, 0, v31
	s_waitcnt vmcnt(10)
	ds_write2st64_b64 v31, v[25:26], v[27:28] offset1:3
	s_waitcnt vmcnt(8)
	ds_write2st64_b64 v31, v[13:14], v[15:16] offset0:6 offset1:9
	s_waitcnt vmcnt(6)
	ds_write2st64_b64 v31, v[9:10], v[17:18] offset0:12 offset1:15
	;; [unrolled: 2-line block ×5, first 2 shown]
	v_cmpx_eq_u32_e32 0xbf, v3
	s_cbranch_execz .LBB0_14
; %bb.13:
	v_add_co_u32 v3, s0, 0x4800, v0
	v_add_co_ci_u32_e64 v4, s0, 0, v4, s0
	v_mov_b32_e32 v0, 0
	global_load_dwordx2 v[7:8], v[3:4], off
	v_mov_b32_e32 v3, 0xbf
	s_waitcnt vmcnt(0)
	ds_write_b64 v0, v[7:8] offset:18432
.LBB0_14:
	s_or_b32 exec_lo, exec_lo, s4
.LBB0_15:
	s_or_b32 exec_lo, exec_lo, s1
	v_lshlrev_b32_e32 v4, 3, v3
	s_waitcnt lgkmcnt(0)
	s_barrier
	buffer_gl0_inv
	s_add_u32 s1, s12, 0x47d0
	v_add_nc_u32_e32 v0, 0, v4
	v_sub_nc_u32_e32 v11, 0, v4
	s_addc_u32 s4, s13, 0
	s_mov_b32 s5, exec_lo
                                        ; implicit-def: $vgpr7_vgpr8
	ds_read_b32 v12, v0
	ds_read_b32 v13, v11 offset:18432
	s_waitcnt lgkmcnt(0)
	v_add_f32_e32 v9, v13, v12
	v_sub_f32_e32 v10, v12, v13
	v_cmpx_ne_u32_e32 0, v3
	s_xor_b32 s5, exec_lo, s5
	s_cbranch_execz .LBB0_17
; %bb.16:
	v_mov_b32_e32 v4, 0
	v_add_f32_e32 v14, v13, v12
	v_sub_f32_e32 v15, v12, v13
	v_lshlrev_b64 v[7:8], 3, v[3:4]
	v_add_co_u32 v7, s0, s1, v7
	v_add_co_ci_u32_e64 v8, s0, s4, v8, s0
	global_load_dwordx2 v[7:8], v[7:8], off
	ds_read_b32 v9, v11 offset:18436
	ds_read_b32 v10, v0 offset:4
	s_waitcnt lgkmcnt(0)
	v_add_f32_e32 v16, v9, v10
	v_sub_f32_e32 v9, v10, v9
	s_waitcnt vmcnt(0)
	v_fma_f32 v12, -v15, v8, v14
	v_fma_f32 v13, v16, v8, -v9
	v_fma_f32 v17, v15, v8, v14
	v_fma_f32 v10, v16, v8, v9
	v_fmac_f32_e32 v12, v7, v16
	v_fmac_f32_e32 v13, v15, v7
	v_fma_f32 v9, -v7, v16, v17
	v_fmac_f32_e32 v10, v15, v7
	v_mov_b32_e32 v8, v4
	v_mov_b32_e32 v7, v3
	ds_write_b64 v11, v[12:13] offset:18432
.LBB0_17:
	s_andn2_saveexec_b32 s0, s5
	s_cbranch_execz .LBB0_19
; %bb.18:
	v_mov_b32_e32 v4, 0
	ds_read_b64 v[7:8], v4 offset:9216
	s_waitcnt lgkmcnt(0)
	v_add_f32_e32 v12, v7, v7
	v_mul_f32_e32 v13, -2.0, v8
	v_mov_b32_e32 v7, 0
	v_mov_b32_e32 v8, 0
	ds_write_b64 v4, v[12:13] offset:9216
.LBB0_19:
	s_or_b32 exec_lo, exec_lo, s0
	v_lshlrev_b64 v[7:8], 3, v[7:8]
	ds_write_b64 v0, v[9:10]
	v_mov_b32_e32 v36, 5
	v_mad_u32_u24 v33, v3, 40, v0
	v_add_co_u32 v12, s0, s1, v7
	v_add_co_ci_u32_e64 v13, s0, s4, v8, s0
	v_add_nc_u32_e32 v39, 0x2400, v33
	v_add_co_u32 v7, s0, 0x800, v12
	global_load_dwordx2 v[14:15], v[12:13], off offset:1536
	v_add_co_ci_u32_e64 v8, s0, 0, v13, s0
	v_add_nc_u32_e32 v40, 0x2410, v33
	v_add_nc_u32_e32 v41, 0x2420, v33
	global_load_dwordx2 v[16:17], v[7:8], off offset:1024
	v_add_co_u32 v7, s0, 0x1000, v12
	v_add_co_ci_u32_e64 v8, s0, 0, v13, s0
	global_load_dwordx2 v[18:19], v[7:8], off offset:512
	v_or_b32_e32 v7, 0x300, v3
	v_mov_b32_e32 v8, 0
	v_lshlrev_b64 v[20:21], 3, v[7:8]
	v_add_co_u32 v20, s0, s1, v20
	v_add_co_ci_u32_e64 v21, s0, s4, v21, s0
	v_add_co_u32 v12, s0, 0x1800, v12
	v_add_co_ci_u32_e64 v13, s0, 0, v13, s0
	global_load_dwordx2 v[20:21], v[20:21], off
	v_cmp_gt_u32_e64 s0, 0x90, v3
	global_load_dwordx2 v[12:13], v[12:13], off offset:1536
	ds_read_b64 v[9:10], v0 offset:1536
	ds_read_b64 v[22:23], v11 offset:16896
	s_waitcnt lgkmcnt(0)
	v_add_f32_e32 v4, v9, v22
	v_add_f32_e32 v7, v23, v10
	v_sub_f32_e32 v24, v9, v22
	v_sub_f32_e32 v9, v10, v23
	s_waitcnt vmcnt(4)
	v_fma_f32 v25, v24, v15, v4
	v_fma_f32 v10, v7, v15, v9
	v_fma_f32 v22, -v24, v15, v4
	v_fma_f32 v23, v7, v15, -v9
	v_fma_f32 v9, -v14, v7, v25
	v_fmac_f32_e32 v10, v24, v14
	v_fmac_f32_e32 v22, v14, v7
	v_fmac_f32_e32 v23, v24, v14
	ds_write_b64 v0, v[9:10] offset:1536
	ds_write_b64 v11, v[22:23] offset:16896
	ds_read_b64 v[9:10], v0 offset:3072
	ds_read_b64 v[14:15], v11 offset:15360
	s_waitcnt lgkmcnt(0)
	v_add_f32_e32 v4, v9, v14
	v_add_f32_e32 v7, v15, v10
	v_sub_f32_e32 v22, v9, v14
	v_sub_f32_e32 v9, v10, v15
	s_waitcnt vmcnt(3)
	v_fma_f32 v23, v22, v17, v4
	v_fma_f32 v10, v7, v17, v9
	v_fma_f32 v14, -v22, v17, v4
	v_fma_f32 v15, v7, v17, -v9
	v_fma_f32 v9, -v16, v7, v23
	v_fmac_f32_e32 v10, v22, v16
	v_fmac_f32_e32 v14, v16, v7
	v_fmac_f32_e32 v15, v22, v16
	ds_write_b64 v0, v[9:10] offset:3072
	ds_write_b64 v11, v[14:15] offset:15360
	ds_read_b64 v[9:10], v0 offset:4608
	ds_read_b64 v[14:15], v11 offset:13824
	s_waitcnt lgkmcnt(0)
	v_add_f32_e32 v4, v9, v14
	v_add_f32_e32 v7, v15, v10
	v_sub_f32_e32 v16, v9, v14
	v_sub_f32_e32 v9, v10, v15
	s_waitcnt vmcnt(2)
	v_fma_f32 v17, v16, v19, v4
	v_fma_f32 v10, v7, v19, v9
	v_fma_f32 v14, -v16, v19, v4
	v_fma_f32 v15, v7, v19, -v9
	v_fma_f32 v9, -v18, v7, v17
	v_fmac_f32_e32 v10, v16, v18
	v_fmac_f32_e32 v14, v18, v7
	v_fmac_f32_e32 v15, v16, v18
	ds_write_b64 v0, v[9:10] offset:4608
	ds_write_b64 v11, v[14:15] offset:13824
	ds_read_b64 v[9:10], v0 offset:6144
	ds_read_b64 v[14:15], v11 offset:12288
	s_waitcnt lgkmcnt(0)
	v_add_f32_e32 v4, v9, v14
	v_add_f32_e32 v7, v15, v10
	v_sub_f32_e32 v16, v9, v14
	v_sub_f32_e32 v9, v10, v15
	s_waitcnt vmcnt(1)
	v_fma_f32 v17, v16, v21, v4
	v_fma_f32 v10, v7, v21, v9
	v_fma_f32 v14, -v16, v21, v4
	v_fma_f32 v15, v7, v21, -v9
	v_add_nc_u32_e32 v4, 0xc0, v3
	v_fma_f32 v9, -v20, v7, v17
	v_fmac_f32_e32 v10, v16, v20
	v_fmac_f32_e32 v14, v20, v7
	;; [unrolled: 1-line block ×3, first 2 shown]
	ds_write_b64 v0, v[9:10] offset:6144
	ds_write_b64 v11, v[14:15] offset:12288
	ds_read_b64 v[9:10], v0 offset:7680
	ds_read_b64 v[14:15], v11 offset:10752
	v_and_b32_e32 v7, 0xff, v3
	v_mov_b32_e32 v16, 0xaaab
	v_mul_lo_u16 v17, 0xab, v7
	v_mul_u32_u24_sdwa v16, v4, v16 dst_sel:DWORD dst_unused:UNUSED_PAD src0_sel:WORD_0 src1_sel:DWORD
	v_mul_lo_u16 v7, v7, 57
	v_lshrrev_b16 v34, 10, v17
	v_lshrrev_b32_e32 v35, 18, v16
	v_mul_lo_u16 v21, v34, 6
	v_mul_lo_u16 v22, v35, 6
	s_waitcnt lgkmcnt(0)
	v_add_f32_e32 v18, v9, v14
	v_add_f32_e32 v19, v15, v10
	v_sub_f32_e32 v20, v9, v14
	v_sub_f32_e32 v9, v10, v15
	v_sub_nc_u16 v37, v3, v21
	v_sub_nc_u16 v46, v4, v22
	s_waitcnt vmcnt(0)
	v_fma_f32 v17, v20, v13, v18
	v_fma_f32 v10, v19, v13, v9
	v_fma_f32 v14, -v20, v13, v18
	v_fma_f32 v15, v19, v13, -v9
	v_mul_u32_u24_sdwa v38, v37, v36 dst_sel:DWORD dst_unused:UNUSED_PAD src0_sel:BYTE_0 src1_sel:DWORD
	v_fma_f32 v9, -v12, v19, v17
	v_fmac_f32_e32 v10, v20, v12
	v_fmac_f32_e32 v14, v12, v19
	;; [unrolled: 1-line block ×3, first 2 shown]
	ds_write_b64 v0, v[9:10] offset:7680
	ds_write_b64 v11, v[14:15] offset:10752
	s_waitcnt lgkmcnt(0)
	s_barrier
	buffer_gl0_inv
	s_barrier
	buffer_gl0_inv
	ds_read2st64_b64 v[9:12], v0 offset1:3
	ds_read2st64_b64 v[13:16], v0 offset0:12 offset1:15
	ds_read2st64_b64 v[17:20], v0 offset0:24 offset1:27
	;; [unrolled: 1-line block ×5, first 2 shown]
	v_mul_u32_u24_sdwa v36, v46, v36 dst_sel:DWORD dst_unused:UNUSED_PAD src0_sel:WORD_0 src1_sel:DWORD
	v_lshlrev_b32_e32 v38, 3, v38
	s_waitcnt lgkmcnt(0)
	s_barrier
	buffer_gl0_inv
	v_lshlrev_b32_e32 v36, 3, v36
	v_add_f32_e32 v42, v9, v13
	v_add_f32_e32 v43, v13, v17
	v_sub_f32_e32 v49, v26, v30
	v_add_f32_e32 v50, v22, v26
	v_add_f32_e32 v26, v26, v30
	v_sub_f32_e32 v44, v14, v18
	v_add_f32_e32 v45, v10, v14
	v_add_f32_e32 v14, v14, v18
	;; [unrolled: 1-line block ×3, first 2 shown]
	v_sub_f32_e32 v57, v28, v32
	v_add_f32_e32 v58, v24, v28
	v_add_f32_e32 v28, v28, v32
	v_sub_f32_e32 v13, v13, v17
	v_add_f32_e32 v48, v25, v29
	v_sub_f32_e32 v25, v25, v29
	;; [unrolled: 2-line block ×3, first 2 shown]
	v_add_f32_e32 v54, v12, v16
	v_add_f32_e32 v16, v16, v20
	;; [unrolled: 1-line block ×4, first 2 shown]
	v_fma_f32 v42, -0.5, v43, v9
	v_fma_f32 v22, -0.5, v26, v22
	v_add_f32_e32 v56, v27, v31
	v_sub_f32_e32 v27, v27, v31
	v_add_f32_e32 v18, v45, v18
	v_fma_f32 v43, -0.5, v14, v10
	v_add_f32_e32 v14, v47, v29
	v_add_f32_e32 v29, v50, v30
	v_fmac_f32_e32 v24, -0.5, v28
	v_add_f32_e32 v52, v15, v19
	v_sub_f32_e32 v15, v15, v19
	v_fma_f32 v21, -0.5, v48, v21
	v_add_f32_e32 v19, v51, v19
	v_add_f32_e32 v20, v54, v20
	v_fmac_f32_e32 v12, -0.5, v16
	v_add_f32_e32 v26, v55, v31
	v_add_f32_e32 v30, v58, v32
	v_fmamk_f32 v28, v44, 0xbf5db3d7, v42
	v_fmac_f32_e32 v42, 0x3f5db3d7, v44
	v_fmamk_f32 v44, v25, 0x3f5db3d7, v22
	v_fmac_f32_e32 v22, 0xbf5db3d7, v25
	v_fma_f32 v23, -0.5, v56, v23
	v_fmamk_f32 v31, v13, 0x3f5db3d7, v43
	v_fmac_f32_e32 v43, 0xbf5db3d7, v13
	v_add_f32_e32 v9, v17, v14
	v_add_f32_e32 v10, v18, v29
	v_sub_f32_e32 v13, v17, v14
	v_sub_f32_e32 v14, v18, v29
	v_fmamk_f32 v29, v27, 0x3f5db3d7, v24
	v_fmac_f32_e32 v24, 0xbf5db3d7, v27
	v_fmamk_f32 v32, v49, 0xbf5db3d7, v21
	v_fmamk_f32 v47, v15, 0x3f5db3d7, v12
	v_fmac_f32_e32 v12, 0xbf5db3d7, v15
	v_add_f32_e32 v15, v19, v26
	v_add_f32_e32 v16, v20, v30
	v_sub_f32_e32 v17, v19, v26
	v_sub_f32_e32 v18, v20, v30
	v_mul_f32_e32 v26, 0xbf5db3d7, v44
	v_mul_f32_e32 v30, 0.5, v44
	v_fmac_f32_e32 v21, 0x3f5db3d7, v49
	v_mul_f32_e32 v27, 0xbf5db3d7, v22
	v_mul_f32_e32 v44, -0.5, v22
	v_fma_f32 v11, -0.5, v52, v11
	v_fmamk_f32 v25, v57, 0xbf5db3d7, v23
	v_mul_f32_e32 v48, 0xbf5db3d7, v29
	v_mul_f32_e32 v50, 0.5, v29
	v_fmac_f32_e32 v23, 0x3f5db3d7, v57
	v_mul_f32_e32 v49, 0xbf5db3d7, v24
	v_mul_f32_e32 v51, -0.5, v24
	v_fmac_f32_e32 v26, 0.5, v32
	v_fmac_f32_e32 v30, 0x3f5db3d7, v32
	v_fmac_f32_e32 v27, -0.5, v21
	v_fmac_f32_e32 v44, 0x3f5db3d7, v21
	v_fmamk_f32 v45, v53, 0xbf5db3d7, v11
	v_fmac_f32_e32 v48, 0.5, v25
	v_fmac_f32_e32 v50, 0x3f5db3d7, v25
	v_fmac_f32_e32 v11, 0x3f5db3d7, v53
	v_fmac_f32_e32 v49, -0.5, v23
	v_fmac_f32_e32 v51, 0x3f5db3d7, v23
	v_add_f32_e32 v19, v28, v26
	v_add_f32_e32 v20, v31, v30
	;; [unrolled: 1-line block ×4, first 2 shown]
	v_sub_f32_e32 v23, v28, v26
	v_sub_f32_e32 v25, v42, v27
	;; [unrolled: 1-line block ×4, first 2 shown]
	v_add_f32_e32 v27, v45, v48
	v_add_f32_e32 v28, v47, v50
	;; [unrolled: 1-line block ×4, first 2 shown]
	v_sub_f32_e32 v11, v11, v49
	v_sub_f32_e32 v12, v12, v51
	;; [unrolled: 1-line block ×4, first 2 shown]
	ds_write2_b64 v33, v[9:10], v[19:20] offset1:1
	ds_write2_b64 v33, v[21:22], v[13:14] offset0:2 offset1:3
	ds_write2_b64 v33, v[23:24], v[25:26] offset0:4 offset1:5
	ds_write2_b64 v39, v[15:16], v[27:28] offset1:1
	ds_write2_b64 v40, v[29:30], v[17:18] offset1:1
	;; [unrolled: 1-line block ×3, first 2 shown]
	s_waitcnt lgkmcnt(0)
	s_barrier
	buffer_gl0_inv
	s_clause 0x5
	global_load_dwordx4 v[10:13], v38, s[12:13]
	global_load_dwordx4 v[14:17], v36, s[12:13]
	global_load_dwordx4 v[18:21], v38, s[12:13] offset:16
	global_load_dwordx4 v[22:25], v36, s[12:13] offset:16
	global_load_dwordx2 v[42:43], v38, s[12:13] offset:32
	global_load_dwordx2 v[44:45], v36, s[12:13] offset:32
	ds_read2st64_b64 v[26:29], v0 offset0:6 offset1:9
	v_mov_b32_e32 v9, 0xe38f
	ds_read2st64_b64 v[30:33], v0 offset0:12 offset1:15
	v_add_nc_u32_e32 v47, 0x180, v3
	v_lshrrev_b16 v49, 11, v7
	v_mov_b32_e32 v7, 0x120
	v_mul_u32_u24_sdwa v48, v4, v9 dst_sel:DWORD dst_unused:UNUSED_PAD src0_sel:WORD_0 src1_sel:DWORD
	v_mul_u32_u24_e32 v53, 0x120, v35
	v_mul_u32_u24_sdwa v51, v47, v9 dst_sel:DWORD dst_unused:UNUSED_PAD src0_sel:WORD_0 src1_sel:DWORD
	v_mov_b32_e32 v9, 3
	v_mul_lo_u16 v36, v49, 36
	v_lshrrev_b32_e32 v50, 21, v48
	v_mul_u32_u24_sdwa v7, v34, v7 dst_sel:DWORD dst_unused:UNUSED_PAD src0_sel:WORD_0 src1_sel:DWORD
	v_lshrrev_b32_e32 v52, 21, v51
	v_lshlrev_b32_sdwa v56, v9, v37 dst_sel:DWORD dst_unused:UNUSED_PAD src0_sel:DWORD src1_sel:BYTE_0
	v_sub_nc_u16 v54, v3, v36
	v_mul_lo_u16 v38, v50, 36
	v_lshrrev_b32_e32 v48, 23, v48
	v_lshrrev_b32_e32 v51, 23, v51
	v_add3_u32 v7, 0, v7, v56
	v_sub_nc_u16 v55, v4, v38
	ds_read2st64_b64 v[34:37], v0 offset0:18 offset1:21
	ds_read2st64_b64 v[38:41], v0 offset0:24 offset1:27
	s_waitcnt vmcnt(5) lgkmcnt(3)
	v_mul_f32_e32 v57, v11, v27
	v_mul_f32_e32 v11, v11, v26
	s_waitcnt lgkmcnt(2)
	v_mul_f32_e32 v58, v13, v31
	v_mul_f32_e32 v13, v13, v30
	s_waitcnt vmcnt(4)
	v_mul_f32_e32 v59, v29, v15
	v_fmac_f32_e32 v57, v10, v26
	v_fma_f32 v26, v10, v27, -v11
	v_mul_f32_e32 v10, v28, v15
	v_fmac_f32_e32 v58, v12, v30
	v_fma_f32 v27, v12, v31, -v13
	v_fmac_f32_e32 v59, v28, v14
	v_lshlrev_b32_sdwa v15, v9, v46 dst_sel:DWORD dst_unused:UNUSED_PAD src0_sel:DWORD src1_sel:WORD_0
	v_fma_f32 v28, v29, v14, -v10
	ds_read2st64_b64 v[10:13], v0 offset0:30 offset1:33
	v_mul_u32_u24_sdwa v30, v54, v9 dst_sel:DWORD dst_unused:UNUSED_PAD src0_sel:BYTE_0 src1_sel:DWORD
	v_mul_f32_e32 v29, v33, v17
	v_mul_f32_e32 v14, v32, v17
	v_add3_u32 v53, 0, v53, v15
	s_waitcnt vmcnt(3) lgkmcnt(2)
	v_mul_f32_e32 v31, v19, v35
	v_lshlrev_b32_e32 v56, 3, v30
	v_fmac_f32_e32 v29, v32, v16
	v_fma_f32 v30, v33, v16, -v14
	ds_read2st64_b64 v[14:17], v0 offset1:3
	v_mul_f32_e32 v19, v19, v34
	s_waitcnt lgkmcnt(2)
	v_mul_f32_e32 v32, v21, v39
	v_mul_f32_e32 v21, v21, v38
	s_waitcnt vmcnt(2)
	v_mul_f32_e32 v33, v37, v23
	v_fmac_f32_e32 v31, v18, v34
	v_fma_f32 v18, v18, v35, -v19
	v_fmac_f32_e32 v32, v20, v38
	v_fma_f32 v19, v20, v39, -v21
	v_mul_f32_e32 v20, v36, v23
	v_mul_f32_e32 v34, v41, v25
	s_waitcnt vmcnt(1) lgkmcnt(1)
	v_mul_f32_e32 v21, v43, v11
	v_mul_f32_e32 v23, v43, v10
	v_fmac_f32_e32 v33, v36, v22
	v_fma_f32 v20, v37, v22, -v20
	v_mul_f32_e32 v22, v40, v25
	s_waitcnt vmcnt(0)
	v_mul_f32_e32 v25, v13, v45
	v_mul_f32_e32 v35, v12, v45
	v_fmac_f32_e32 v21, v42, v10
	v_fma_f32 v10, v42, v11, -v23
	v_fma_f32 v11, v41, v24, -v22
	v_fmac_f32_e32 v25, v12, v44
	v_fma_f32 v12, v13, v44, -v35
	s_waitcnt lgkmcnt(0)
	v_add_f32_e32 v13, v14, v58
	v_add_f32_e32 v22, v58, v32
	v_sub_f32_e32 v38, v18, v10
	v_add_f32_e32 v39, v26, v18
	v_add_f32_e32 v18, v18, v10
	v_sub_f32_e32 v35, v58, v32
	v_sub_f32_e32 v58, v20, v12
	v_add_f32_e32 v60, v28, v20
	v_add_f32_e32 v20, v20, v12
	v_fmac_f32_e32 v34, v40, v24
	v_sub_f32_e32 v23, v27, v19
	v_add_f32_e32 v24, v15, v27
	v_add_f32_e32 v27, v27, v19
	;; [unrolled: 1-line block ×4, first 2 shown]
	v_sub_f32_e32 v31, v31, v21
	v_add_f32_e32 v43, v17, v30
	v_add_f32_e32 v44, v59, v33
	;; [unrolled: 1-line block ×3, first 2 shown]
	v_fma_f32 v32, -0.5, v22, v14
	v_fmac_f32_e32 v26, -0.5, v18
	v_sub_f32_e32 v42, v30, v11
	v_add_f32_e32 v30, v30, v11
	v_add_f32_e32 v45, v33, v25
	v_sub_f32_e32 v33, v33, v25
	v_fmac_f32_e32 v28, -0.5, v20
	v_add_f32_e32 v14, v24, v19
	v_fma_f32 v27, -0.5, v27, v15
	v_add_f32_e32 v15, v36, v21
	v_fmac_f32_e32 v57, -0.5, v37
	v_add_f32_e32 v19, v39, v10
	v_add_f32_e32 v21, v43, v11
	;; [unrolled: 1-line block ×4, first 2 shown]
	v_fmamk_f32 v25, v23, 0xbf5db3d7, v32
	v_fmac_f32_e32 v32, 0x3f5db3d7, v23
	v_fmamk_f32 v23, v31, 0x3f5db3d7, v26
	v_fmac_f32_e32 v26, 0xbf5db3d7, v31
	v_add_f32_e32 v40, v16, v29
	v_add_f32_e32 v41, v29, v34
	v_sub_f32_e32 v29, v29, v34
	v_fmac_f32_e32 v17, -0.5, v30
	v_fmac_f32_e32 v59, -0.5, v45
	v_fmamk_f32 v31, v33, 0x3f5db3d7, v28
	v_fmac_f32_e32 v28, 0xbf5db3d7, v33
	v_fmamk_f32 v20, v38, 0xbf5db3d7, v57
	v_add_f32_e32 v10, v13, v15
	v_add_f32_e32 v11, v14, v19
	v_sub_f32_e32 v12, v13, v15
	v_sub_f32_e32 v13, v14, v19
	v_add_f32_e32 v15, v21, v24
	v_sub_f32_e32 v19, v21, v24
	v_mul_f32_e32 v24, 0xbf5db3d7, v23
	v_mul_f32_e32 v36, 0.5, v23
	v_fmac_f32_e32 v57, 0x3f5db3d7, v38
	v_mul_f32_e32 v33, 0xbf5db3d7, v26
	v_mul_f32_e32 v37, -0.5, v26
	v_add_f32_e32 v18, v40, v34
	v_fma_f32 v16, -0.5, v41, v16
	v_fmamk_f32 v30, v35, 0x3f5db3d7, v27
	v_fmac_f32_e32 v27, 0xbf5db3d7, v35
	v_fmamk_f32 v35, v29, 0x3f5db3d7, v17
	v_fmac_f32_e32 v17, 0xbf5db3d7, v29
	v_fmamk_f32 v29, v58, 0xbf5db3d7, v59
	v_mul_f32_e32 v38, 0xbf5db3d7, v31
	v_mul_f32_e32 v40, 0.5, v31
	v_fmac_f32_e32 v59, 0x3f5db3d7, v58
	v_mul_f32_e32 v39, 0xbf5db3d7, v28
	v_mul_f32_e32 v41, -0.5, v28
	v_fmac_f32_e32 v24, 0.5, v20
	v_fmac_f32_e32 v36, 0x3f5db3d7, v20
	v_fmac_f32_e32 v33, -0.5, v57
	v_fmac_f32_e32 v37, 0x3f5db3d7, v57
	v_fmamk_f32 v34, v42, 0xbf5db3d7, v16
	v_fmac_f32_e32 v38, 0.5, v29
	v_fmac_f32_e32 v40, 0x3f5db3d7, v29
	v_fmac_f32_e32 v16, 0x3f5db3d7, v42
	v_fmac_f32_e32 v39, -0.5, v59
	v_fmac_f32_e32 v41, 0x3f5db3d7, v59
	v_add_f32_e32 v20, v25, v24
	v_add_f32_e32 v21, v30, v36
	;; [unrolled: 1-line block ×3, first 2 shown]
	v_sub_f32_e32 v18, v18, v22
	v_add_f32_e32 v22, v32, v33
	v_add_f32_e32 v23, v27, v37
	v_sub_f32_e32 v24, v25, v24
	v_sub_f32_e32 v26, v32, v33
	;; [unrolled: 1-line block ×4, first 2 shown]
	v_add_f32_e32 v28, v34, v38
	v_add_f32_e32 v29, v35, v40
	;; [unrolled: 1-line block ×4, first 2 shown]
	v_mul_u32_u24_sdwa v46, v55, v9 dst_sel:DWORD dst_unused:UNUSED_PAD src0_sel:WORD_0 src1_sel:DWORD
	s_barrier
	buffer_gl0_inv
	v_sub_f32_e32 v32, v34, v38
	v_sub_f32_e32 v16, v16, v39
	;; [unrolled: 1-line block ×4, first 2 shown]
	ds_write2_b64 v7, v[10:11], v[20:21] offset1:6
	ds_write2_b64 v7, v[22:23], v[12:13] offset0:12 offset1:18
	ds_write2_b64 v7, v[24:25], v[26:27] offset0:24 offset1:30
	ds_write2_b64 v53, v[14:15], v[28:29] offset1:6
	ds_write2_b64 v53, v[30:31], v[18:19] offset0:12 offset1:18
	ds_write2_b64 v53, v[32:33], v[16:17] offset0:24 offset1:30
	s_waitcnt lgkmcnt(0)
	s_barrier
	buffer_gl0_inv
	global_load_dwordx4 v[10:13], v56, s[12:13] offset:240
	v_mul_lo_u16 v7, v52, 36
	v_lshlrev_b32_e32 v22, 3, v46
	v_mov_b32_e32 v26, 0x480
	v_mul_lo_u16 v34, 0x90, v48
	v_mul_lo_u16 v35, 0x90, v51
	v_sub_nc_u16 v32, v47, v7
	global_load_dwordx4 v[14:17], v22, s[12:13] offset:240
	v_mul_u32_u24_sdwa v33, v49, v26 dst_sel:DWORD dst_unused:UNUSED_PAD src0_sel:WORD_0 src1_sel:DWORD
	v_sub_nc_u16 v4, v4, v34
	v_lshlrev_b32_sdwa v34, v9, v54 dst_sel:DWORD dst_unused:UNUSED_PAD src0_sel:DWORD src1_sel:BYTE_0
	v_mul_u32_u24_sdwa v7, v32, v9 dst_sel:DWORD dst_unused:UNUSED_PAD src0_sel:WORD_0 src1_sel:DWORD
	v_mul_u32_u24_e32 v49, 0x480, v50
	v_sub_nc_u16 v50, v47, v35
	v_lshlrev_b32_sdwa v47, v9, v55 dst_sel:DWORD dst_unused:UNUSED_PAD src0_sel:DWORD src1_sel:WORD_0
	v_add3_u32 v54, 0, v33, v34
	v_lshlrev_b32_e32 v7, 3, v7
	s_clause 0x3
	global_load_dwordx4 v[18:21], v7, s[12:13] offset:240
	global_load_dwordx2 v[38:39], v56, s[12:13] offset:256
	global_load_dwordx2 v[40:41], v22, s[12:13] offset:256
	;; [unrolled: 1-line block ×3, first 2 shown]
	v_add_nc_u32_e32 v7, 0xffffff70, v3
	ds_read2st64_b64 v[22:25], v0 offset0:6 offset1:9
	ds_read2st64_b64 v[26:29], v0 offset0:18 offset1:21
	;; [unrolled: 1-line block ×3, first 2 shown]
	v_mul_u32_u24_sdwa v53, v50, v9 dst_sel:DWORD dst_unused:UNUSED_PAD src0_sel:WORD_0 src1_sel:DWORD
	v_cndmask_b32_e64 v46, v7, v3, s0
	v_add3_u32 v47, 0, v49, v47
	v_lshlrev_b32_e32 v49, 3, v53
	v_mul_i32_i24_e32 v7, 3, v46
	v_lshlrev_b64 v[30:31], 3, v[7:8]
	v_mul_u32_u24_e32 v7, 0x480, v52
	v_lshlrev_b32_sdwa v52, v9, v32 dst_sel:DWORD dst_unused:UNUSED_PAD src0_sel:DWORD src1_sel:WORD_0
	v_add_co_u32 v44, s0, s12, v30
	v_add_co_ci_u32_e64 v45, s0, s13, v31, s0
	ds_read2st64_b64 v[30:33], v0 offset0:12 offset1:15
	v_add3_u32 v7, 0, v7, v52
	v_cmp_lt_u32_e64 s0, 0x8f, v3
	s_waitcnt vmcnt(5) lgkmcnt(3)
	v_mul_f32_e32 v55, v11, v25
	v_mul_f32_e32 v11, v11, v24
	s_waitcnt lgkmcnt(2)
	v_mul_f32_e32 v56, v13, v27
	v_mul_f32_e32 v13, v13, v26
	v_fmac_f32_e32 v55, v10, v24
	v_fma_f32 v57, v10, v25, -v11
	v_fmac_f32_e32 v56, v12, v26
	v_fma_f32 v58, v12, v27, -v13
	ds_read2st64_b64 v[10:13], v0 offset0:30 offset1:33
	s_waitcnt vmcnt(4)
	v_mul_f32_e32 v59, v17, v29
	v_mul_f32_e32 v17, v17, v28
	ds_read2st64_b64 v[24:27], v0 offset1:3
	s_waitcnt vmcnt(0) lgkmcnt(0)
	s_barrier
	v_fmac_f32_e32 v59, v16, v28
	v_fma_f32 v16, v16, v29, -v17
	v_mul_f32_e32 v17, v15, v31
	v_mul_f32_e32 v15, v15, v30
	;; [unrolled: 1-line block ×4, first 2 shown]
	buffer_gl0_inv
	v_fmac_f32_e32 v17, v14, v30
	v_fma_f32 v14, v14, v31, -v15
	v_mul_f32_e32 v15, v32, v19
	v_mul_f32_e32 v19, v39, v37
	v_fmac_f32_e32 v28, v32, v18
	v_mul_f32_e32 v31, v35, v21
	v_mul_f32_e32 v21, v34, v21
	v_mul_f32_e32 v30, v11, v41
	v_fma_f32 v15, v33, v18, -v15
	v_mul_f32_e32 v18, v10, v41
	v_mul_f32_e32 v32, v13, v43
	;; [unrolled: 1-line block ×3, first 2 shown]
	v_fmac_f32_e32 v19, v38, v36
	v_fma_f32 v29, v38, v37, -v29
	v_fmac_f32_e32 v30, v10, v40
	v_fma_f32 v10, v11, v40, -v18
	;; [unrolled: 2-line block ×4, first 2 shown]
	v_sub_f32_e32 v18, v24, v56
	v_sub_f32_e32 v20, v25, v58
	;; [unrolled: 1-line block ×12, first 2 shown]
	v_fma_f32 v35, v24, 2.0, -v18
	v_fma_f32 v36, v25, 2.0, -v20
	;; [unrolled: 1-line block ×4, first 2 shown]
	v_sub_f32_e32 v11, v20, v13
	v_fma_f32 v37, v26, 2.0, -v29
	v_fma_f32 v38, v27, 2.0, -v33
	;; [unrolled: 1-line block ×8, first 2 shown]
	v_add_f32_e32 v10, v18, v19
	v_add_f32_e32 v12, v29, v21
	v_sub_f32_e32 v13, v33, v16
	v_sub_f32_e32 v16, v35, v24
	;; [unrolled: 1-line block ×3, first 2 shown]
	v_add_f32_e32 v14, v30, v34
	v_sub_f32_e32 v15, v31, v32
	v_fma_f32 v19, v20, 2.0, -v11
	v_sub_f32_e32 v20, v37, v26
	v_sub_f32_e32 v21, v38, v27
	;; [unrolled: 1-line block ×4, first 2 shown]
	v_fma_f32 v18, v18, 2.0, -v10
	v_fma_f32 v22, v29, 2.0, -v12
	;; [unrolled: 1-line block ×11, first 2 shown]
	ds_write2_b64 v54, v[16:17], v[10:11] offset0:72 offset1:108
	ds_write2_b64 v54, v[28:29], v[18:19] offset1:36
	ds_write2_b64 v47, v[30:31], v[22:23] offset1:36
	ds_write2_b64 v47, v[20:21], v[12:13] offset0:72 offset1:108
	ds_write2_b64 v7, v[32:33], v[26:27] offset1:36
	ds_write2_b64 v7, v[24:25], v[14:15] offset0:72 offset1:108
	s_waitcnt lgkmcnt(0)
	s_barrier
	buffer_gl0_inv
	s_clause 0x1
	global_load_dwordx2 v[38:39], v[44:45], off offset:1120
	global_load_dwordx4 v[10:13], v49, s[12:13] offset:1104
	v_mul_u32_u24_sdwa v7, v4, v9 dst_sel:DWORD dst_unused:UNUSED_PAD src0_sel:WORD_0 src1_sel:DWORD
	v_cndmask_b32_e64 v22, 0, 0x1200, s0
	v_lshlrev_b32_e32 v23, 3, v46
	v_mul_u32_u24_e32 v30, 0x1200, v48
	v_mul_u32_u24_e32 v31, 0x1200, v51
	v_lshlrev_b32_e32 v7, 3, v7
	s_clause 0x3
	global_load_dwordx4 v[14:17], v7, s[12:13] offset:1104
	global_load_dwordx4 v[18:21], v[44:45], off offset:1104
	global_load_dwordx2 v[40:41], v7, s[12:13] offset:1120
	global_load_dwordx2 v[42:43], v49, s[12:13] offset:1120
	v_add3_u32 v53, 0, v22, v23
	ds_read2st64_b64 v[22:25], v0 offset0:24 offset1:27
	ds_read2st64_b64 v[26:29], v0 offset0:12 offset1:15
	v_lshlrev_b32_sdwa v4, v9, v4 dst_sel:DWORD dst_unused:UNUSED_PAD src0_sel:DWORD src1_sel:WORD_0
	v_lshlrev_b32_sdwa v9, v9, v50 dst_sel:DWORD dst_unused:UNUSED_PAD src0_sel:DWORD src1_sel:WORD_0
	v_mul_u32_u24_e32 v7, 3, v3
	v_add_nc_u32_e32 v54, 0x800, v53
	v_add3_u32 v4, 0, v30, v4
	v_add3_u32 v55, 0, v31, v9
	ds_read2st64_b64 v[30:33], v0 offset0:6 offset1:9
	ds_read2st64_b64 v[34:37], v0 offset0:18 offset1:21
	v_lshlrev_b32_e32 v7, 3, v7
	v_add_nc_u32_e32 v56, 0x800, v4
	v_add_nc_u32_e32 v60, 0x800, v55
	v_add_co_u32 v7, s0, s12, v7
	v_add_co_ci_u32_e64 v52, null, s13, 0, s0
	v_add_co_u32 v44, s0, 0x11d0, v7
	v_add_co_ci_u32_e64 v45, s0, 0, v52, s0
	v_add_co_u32 v46, s0, 0x1000, v7
	v_add_co_ci_u32_e64 v47, s0, 0, v52, s0
	;; [unrolled: 2-line block ×4, first 2 shown]
	s_waitcnt vmcnt(5) lgkmcnt(3)
	v_mul_f32_e32 v57, v39, v25
	v_mul_f32_e32 v9, v39, v24
	s_waitcnt vmcnt(4)
	v_mul_f32_e32 v58, v23, v13
	v_mul_f32_e32 v13, v22, v13
	s_waitcnt lgkmcnt(2)
	v_mul_f32_e32 v39, v29, v11
	v_fmac_f32_e32 v57, v38, v24
	v_fma_f32 v38, v38, v25, -v9
	v_fmac_f32_e32 v58, v22, v12
	v_fma_f32 v13, v23, v12, -v13
	ds_read2st64_b64 v[22:25], v0 offset0:30 offset1:33
	v_mul_f32_e32 v11, v28, v11
	s_waitcnt vmcnt(3)
	v_mul_f32_e32 v59, v15, v27
	v_mul_f32_e32 v9, v15, v26
	v_fmac_f32_e32 v39, v28, v10
	v_fma_f32 v15, v29, v10, -v11
	v_fmac_f32_e32 v59, v14, v26
	v_fma_f32 v14, v14, v27, -v9
	ds_read2st64_b64 v[9:12], v0 offset1:3
	s_waitcnt lgkmcnt(2)
	v_mul_f32_e32 v26, v17, v37
	v_mul_f32_e32 v17, v17, v36
	s_waitcnt vmcnt(2)
	v_mul_f32_e32 v27, v21, v35
	s_waitcnt vmcnt(0) lgkmcnt(0)
	s_barrier
	v_fmac_f32_e32 v26, v16, v36
	v_fma_f32 v16, v16, v37, -v17
	v_mul_f32_e32 v17, v21, v34
	v_mul_f32_e32 v21, v19, v33
	;; [unrolled: 1-line block ×4, first 2 shown]
	v_fmac_f32_e32 v27, v20, v34
	v_fma_f32 v17, v20, v35, -v17
	v_mul_f32_e32 v20, v22, v41
	v_mul_f32_e32 v29, v25, v43
	;; [unrolled: 1-line block ×3, first 2 shown]
	v_fmac_f32_e32 v21, v18, v32
	v_fma_f32 v18, v18, v33, -v19
	v_fmac_f32_e32 v28, v22, v40
	v_fma_f32 v19, v23, v40, -v20
	;; [unrolled: 2-line block ×3, first 2 shown]
	v_sub_f32_e32 v22, v9, v27
	v_sub_f32_e32 v23, v10, v17
	;; [unrolled: 1-line block ×12, first 2 shown]
	v_fma_f32 v32, v9, 2.0, -v22
	v_fma_f32 v33, v10, 2.0, -v23
	;; [unrolled: 1-line block ×4, first 2 shown]
	v_add_f32_e32 v9, v22, v24
	v_fma_f32 v34, v11, 2.0, -v25
	v_fma_f32 v35, v12, 2.0, -v26
	;; [unrolled: 1-line block ×4, first 2 shown]
	v_sub_f32_e32 v10, v23, v17
	v_fma_f32 v36, v30, 2.0, -v27
	v_fma_f32 v37, v31, 2.0, -v28
	;; [unrolled: 1-line block ×4, first 2 shown]
	v_add_f32_e32 v11, v25, v19
	v_sub_f32_e32 v12, v26, v16
	v_add_f32_e32 v13, v27, v13
	v_sub_f32_e32 v14, v28, v29
	v_sub_f32_e32 v15, v32, v20
	v_sub_f32_e32 v16, v33, v18
	v_sub_f32_e32 v19, v34, v21
	v_sub_f32_e32 v20, v35, v24
	v_fma_f32 v18, v23, 2.0, -v10
	v_sub_f32_e32 v23, v36, v30
	v_sub_f32_e32 v24, v37, v31
	v_fma_f32 v17, v22, 2.0, -v9
	v_fma_f32 v21, v25, 2.0, -v11
	;; [unrolled: 1-line block ×11, first 2 shown]
	buffer_gl0_inv
	ds_write2_b64 v54, v[15:16], v[9:10] offset0:32 offset1:176
	ds_write2_b64 v53, v[27:28], v[17:18] offset1:144
	ds_write2_b64 v4, v[29:30], v[21:22] offset1:144
	ds_write2_b64 v56, v[19:20], v[11:12] offset0:32 offset1:176
	ds_write2_b64 v55, v[31:32], v[25:26] offset1:144
	ds_write2_b64 v60, v[23:24], v[13:14] offset0:32 offset1:176
	v_add_co_u32 v17, s0, 0x3000, v7
	v_add_co_ci_u32_e64 v18, s0, 0, v52, s0
	v_add_co_u32 v21, s0, 0x35d0, v7
	v_add_co_ci_u32_e64 v22, s0, 0, v52, s0
	s_waitcnt lgkmcnt(0)
	s_barrier
	buffer_gl0_inv
	s_clause 0x5
	global_load_dwordx4 v[9:12], v[46:47], off offset:464
	global_load_dwordx2 v[45:46], v[44:45], off offset:16
	global_load_dwordx4 v[13:16], v[50:51], off offset:976
	global_load_dwordx2 v[47:48], v[48:49], off offset:16
	;; [unrolled: 2-line block ×3, first 2 shown]
	ds_read2st64_b64 v[21:24], v0 offset0:6 offset1:9
	ds_read2st64_b64 v[25:28], v0 offset0:18 offset1:21
	;; [unrolled: 1-line block ×5, first 2 shown]
	ds_read2st64_b64 v[41:44], v0 offset1:3
	s_waitcnt vmcnt(0) lgkmcnt(0)
	s_barrier
	buffer_gl0_inv
	v_mul_f32_e32 v4, v10, v24
	v_mul_f32_e32 v7, v10, v23
	;; [unrolled: 1-line block ×13, first 2 shown]
	v_fmac_f32_e32 v4, v9, v23
	v_fma_f32 v7, v9, v24, -v7
	v_fmac_f32_e32 v10, v11, v25
	v_fma_f32 v9, v11, v26, -v12
	v_mul_f32_e32 v11, v35, v18
	v_mul_f32_e32 v12, v30, v20
	v_mul_f32_e32 v18, v29, v20
	v_mul_f32_e32 v20, v40, v50
	v_mul_f32_e32 v24, v39, v50
	v_fmac_f32_e32 v51, v45, v31
	v_fma_f32 v23, v45, v32, -v46
	v_fmac_f32_e32 v52, v13, v33
	v_fma_f32 v13, v13, v34, -v14
	;; [unrolled: 2-line block ×7, first 2 shown]
	v_sub_f32_e32 v18, v41, v10
	v_sub_f32_e32 v19, v42, v9
	;; [unrolled: 1-line block ×12, first 2 shown]
	v_fma_f32 v27, v41, 2.0, -v18
	v_fma_f32 v28, v42, 2.0, -v19
	v_fma_f32 v4, v4, 2.0, -v10
	v_fma_f32 v7, v7, 2.0, -v9
	v_add_f32_e32 v9, v18, v9
	v_sub_f32_e32 v10, v19, v10
	v_fma_f32 v29, v43, 2.0, -v23
	v_fma_f32 v30, v44, 2.0, -v24
	v_fma_f32 v31, v52, 2.0, -v14
	v_fma_f32 v32, v13, 2.0, -v15
	v_add_f32_e32 v11, v23, v15
	v_sub_f32_e32 v12, v24, v14
	;; [unrolled: 6-line block ×3, first 2 shown]
	v_sub_f32_e32 v15, v27, v4
	v_sub_f32_e32 v16, v28, v7
	v_fma_f32 v17, v18, 2.0, -v9
	v_fma_f32 v18, v19, 2.0, -v10
	v_sub_f32_e32 v19, v29, v31
	v_sub_f32_e32 v20, v30, v32
	v_fma_f32 v21, v23, 2.0, -v11
	v_fma_f32 v22, v24, 2.0, -v12
	;; [unrolled: 4-line block ×3, first 2 shown]
	ds_write2st64_b64 v0, v[11:12], v[13:14] offset0:30 offset1:33
	v_fma_f32 v11, v27, 2.0, -v15
	v_fma_f32 v12, v28, 2.0, -v16
	;; [unrolled: 1-line block ×6, first 2 shown]
	ds_write2st64_b64 v0, v[15:16], v[19:20] offset0:18 offset1:21
	ds_write2st64_b64 v0, v[21:22], v[25:26] offset0:12 offset1:15
	;; [unrolled: 1-line block ×3, first 2 shown]
	ds_write2st64_b64 v0, v[11:12], v[13:14] offset1:3
	ds_write2st64_b64 v0, v[27:28], v[17:18] offset0:6 offset1:9
	s_waitcnt lgkmcnt(0)
	s_barrier
	buffer_gl0_inv
	s_and_saveexec_b32 s0, vcc_lo
	s_cbranch_execz .LBB0_21
; %bb.20:
	v_mul_lo_u32 v0, s3, v5
	v_mul_lo_u32 v4, s2, v6
	v_mad_u64_u32 v[5:6], null, s2, v5, 0
	v_lshl_add_u32 v25, v3, 3, 0
	v_add_nc_u32_e32 v7, 0xc0, v3
	ds_read2st64_b64 v[9:12], v25 offset1:3
	v_add3_u32 v6, v6, v4, v0
	v_mov_b32_e32 v4, v8
	v_lshlrev_b64 v[0:1], 3, v[1:2]
	ds_read2st64_b64 v[13:16], v25 offset0:6 offset1:9
	v_lshlrev_b64 v[19:20], 3, v[7:8]
	v_lshlrev_b64 v[5:6], 3, v[5:6]
	;; [unrolled: 1-line block ×3, first 2 shown]
	v_add_nc_u32_e32 v7, 0x180, v3
	v_add_co_u32 v2, vcc_lo, s10, v5
	v_add_co_ci_u32_e32 v4, vcc_lo, s11, v6, vcc_lo
	v_add_co_u32 v26, vcc_lo, v2, v0
	v_add_co_ci_u32_e32 v27, vcc_lo, v4, v1, vcc_lo
	v_lshlrev_b64 v[0:1], 3, v[7:8]
	v_add_co_u32 v4, vcc_lo, v26, v17
	v_add_nc_u32_e32 v7, 0x240, v3
	v_add_co_ci_u32_e32 v5, vcc_lo, v27, v18, vcc_lo
	v_add_co_u32 v17, vcc_lo, v26, v19
	v_add_co_ci_u32_e32 v18, vcc_lo, v27, v20, vcc_lo
	v_add_co_u32 v0, vcc_lo, v26, v0
	v_lshlrev_b64 v[19:20], 3, v[7:8]
	v_add_nc_u32_e32 v7, 0x300, v3
	v_add_co_ci_u32_e32 v1, vcc_lo, v27, v1, vcc_lo
	s_waitcnt lgkmcnt(1)
	global_store_dwordx2 v[4:5], v[9:10], off
	global_store_dwordx2 v[17:18], v[11:12], off
	s_waitcnt lgkmcnt(0)
	global_store_dwordx2 v[0:1], v[13:14], off
	v_lshlrev_b64 v[0:1], 3, v[7:8]
	v_add_nc_u32_e32 v7, 0x3c0, v3
	v_add_co_u32 v4, vcc_lo, v26, v19
	ds_read2st64_b64 v[9:12], v25 offset0:12 offset1:15
	v_add_co_ci_u32_e32 v5, vcc_lo, v27, v20, vcc_lo
	ds_read2st64_b64 v[17:20], v25 offset0:18 offset1:21
	v_lshlrev_b64 v[13:14], 3, v[7:8]
	v_add_nc_u32_e32 v7, 0x480, v3
	v_add_co_u32 v0, vcc_lo, v26, v0
	v_add_co_ci_u32_e32 v1, vcc_lo, v27, v1, vcc_lo
	v_lshlrev_b64 v[21:22], 3, v[7:8]
	v_add_nc_u32_e32 v7, 0x540, v3
	v_add_co_u32 v13, vcc_lo, v26, v13
	v_add_co_ci_u32_e32 v14, vcc_lo, v27, v14, vcc_lo
	;; [unrolled: 4-line block ×3, first 2 shown]
	global_store_dwordx2 v[4:5], v[15:16], off
	s_waitcnt lgkmcnt(1)
	global_store_dwordx2 v[0:1], v[9:10], off
	global_store_dwordx2 v[13:14], v[11:12], off
	s_waitcnt lgkmcnt(0)
	global_store_dwordx2 v[21:22], v[17:18], off
	v_lshlrev_b64 v[0:1], 3, v[7:8]
	v_add_nc_u32_e32 v7, 0x6c0, v3
	ds_read2st64_b64 v[9:12], v25 offset0:24 offset1:27
	ds_read2st64_b64 v[13:16], v25 offset0:30 offset1:33
	v_add_co_u32 v4, vcc_lo, v26, v23
	v_lshlrev_b64 v[17:18], 3, v[7:8]
	v_add_nc_u32_e32 v7, 0x780, v3
	v_add_co_ci_u32_e32 v5, vcc_lo, v27, v24, vcc_lo
	v_add_co_u32 v0, vcc_lo, v26, v0
	v_lshlrev_b64 v[21:22], 3, v[7:8]
	v_add_nc_u32_e32 v7, 0x840, v3
	v_add_co_ci_u32_e32 v1, vcc_lo, v27, v1, vcc_lo
	v_add_co_u32 v2, vcc_lo, v26, v17
	v_lshlrev_b64 v[6:7], 3, v[7:8]
	v_add_co_ci_u32_e32 v3, vcc_lo, v27, v18, vcc_lo
	v_add_co_u32 v17, vcc_lo, v26, v21
	v_add_co_ci_u32_e32 v18, vcc_lo, v27, v22, vcc_lo
	v_add_co_u32 v6, vcc_lo, v26, v6
	v_add_co_ci_u32_e32 v7, vcc_lo, v27, v7, vcc_lo
	global_store_dwordx2 v[4:5], v[19:20], off
	s_waitcnt lgkmcnt(1)
	global_store_dwordx2 v[0:1], v[9:10], off
	global_store_dwordx2 v[2:3], v[11:12], off
	s_waitcnt lgkmcnt(0)
	global_store_dwordx2 v[17:18], v[13:14], off
	global_store_dwordx2 v[6:7], v[15:16], off
.LBB0_21:
	s_endpgm
	.section	.rodata,"a",@progbits
	.p2align	6, 0x0
	.amdhsa_kernel fft_rtc_back_len2304_factors_6_6_4_4_4_wgs_192_tpt_192_halfLds_sp_op_CI_CI_unitstride_sbrr_C2R_dirReg
		.amdhsa_group_segment_fixed_size 0
		.amdhsa_private_segment_fixed_size 0
		.amdhsa_kernarg_size 104
		.amdhsa_user_sgpr_count 6
		.amdhsa_user_sgpr_private_segment_buffer 1
		.amdhsa_user_sgpr_dispatch_ptr 0
		.amdhsa_user_sgpr_queue_ptr 0
		.amdhsa_user_sgpr_kernarg_segment_ptr 1
		.amdhsa_user_sgpr_dispatch_id 0
		.amdhsa_user_sgpr_flat_scratch_init 0
		.amdhsa_user_sgpr_private_segment_size 0
		.amdhsa_wavefront_size32 1
		.amdhsa_uses_dynamic_stack 0
		.amdhsa_system_sgpr_private_segment_wavefront_offset 0
		.amdhsa_system_sgpr_workgroup_id_x 1
		.amdhsa_system_sgpr_workgroup_id_y 0
		.amdhsa_system_sgpr_workgroup_id_z 0
		.amdhsa_system_sgpr_workgroup_info 0
		.amdhsa_system_vgpr_workitem_id 0
		.amdhsa_next_free_vgpr 61
		.amdhsa_next_free_sgpr 27
		.amdhsa_reserve_vcc 1
		.amdhsa_reserve_flat_scratch 0
		.amdhsa_float_round_mode_32 0
		.amdhsa_float_round_mode_16_64 0
		.amdhsa_float_denorm_mode_32 3
		.amdhsa_float_denorm_mode_16_64 3
		.amdhsa_dx10_clamp 1
		.amdhsa_ieee_mode 1
		.amdhsa_fp16_overflow 0
		.amdhsa_workgroup_processor_mode 1
		.amdhsa_memory_ordered 1
		.amdhsa_forward_progress 0
		.amdhsa_shared_vgpr_count 0
		.amdhsa_exception_fp_ieee_invalid_op 0
		.amdhsa_exception_fp_denorm_src 0
		.amdhsa_exception_fp_ieee_div_zero 0
		.amdhsa_exception_fp_ieee_overflow 0
		.amdhsa_exception_fp_ieee_underflow 0
		.amdhsa_exception_fp_ieee_inexact 0
		.amdhsa_exception_int_div_zero 0
	.end_amdhsa_kernel
	.text
.Lfunc_end0:
	.size	fft_rtc_back_len2304_factors_6_6_4_4_4_wgs_192_tpt_192_halfLds_sp_op_CI_CI_unitstride_sbrr_C2R_dirReg, .Lfunc_end0-fft_rtc_back_len2304_factors_6_6_4_4_4_wgs_192_tpt_192_halfLds_sp_op_CI_CI_unitstride_sbrr_C2R_dirReg
                                        ; -- End function
	.section	.AMDGPU.csdata,"",@progbits
; Kernel info:
; codeLenInByte = 7732
; NumSgprs: 29
; NumVgprs: 61
; ScratchSize: 0
; MemoryBound: 0
; FloatMode: 240
; IeeeMode: 1
; LDSByteSize: 0 bytes/workgroup (compile time only)
; SGPRBlocks: 3
; VGPRBlocks: 7
; NumSGPRsForWavesPerEU: 29
; NumVGPRsForWavesPerEU: 61
; Occupancy: 15
; WaveLimiterHint : 1
; COMPUTE_PGM_RSRC2:SCRATCH_EN: 0
; COMPUTE_PGM_RSRC2:USER_SGPR: 6
; COMPUTE_PGM_RSRC2:TRAP_HANDLER: 0
; COMPUTE_PGM_RSRC2:TGID_X_EN: 1
; COMPUTE_PGM_RSRC2:TGID_Y_EN: 0
; COMPUTE_PGM_RSRC2:TGID_Z_EN: 0
; COMPUTE_PGM_RSRC2:TIDIG_COMP_CNT: 0
	.text
	.p2alignl 6, 3214868480
	.fill 48, 4, 3214868480
	.type	__hip_cuid_50a6333de68c4fe7,@object ; @__hip_cuid_50a6333de68c4fe7
	.section	.bss,"aw",@nobits
	.globl	__hip_cuid_50a6333de68c4fe7
__hip_cuid_50a6333de68c4fe7:
	.byte	0                               ; 0x0
	.size	__hip_cuid_50a6333de68c4fe7, 1

	.ident	"AMD clang version 19.0.0git (https://github.com/RadeonOpenCompute/llvm-project roc-6.4.0 25133 c7fe45cf4b819c5991fe208aaa96edf142730f1d)"
	.section	".note.GNU-stack","",@progbits
	.addrsig
	.addrsig_sym __hip_cuid_50a6333de68c4fe7
	.amdgpu_metadata
---
amdhsa.kernels:
  - .args:
      - .actual_access:  read_only
        .address_space:  global
        .offset:         0
        .size:           8
        .value_kind:     global_buffer
      - .offset:         8
        .size:           8
        .value_kind:     by_value
      - .actual_access:  read_only
        .address_space:  global
        .offset:         16
        .size:           8
        .value_kind:     global_buffer
      - .actual_access:  read_only
        .address_space:  global
        .offset:         24
        .size:           8
        .value_kind:     global_buffer
      - .actual_access:  read_only
        .address_space:  global
        .offset:         32
        .size:           8
        .value_kind:     global_buffer
      - .offset:         40
        .size:           8
        .value_kind:     by_value
      - .actual_access:  read_only
        .address_space:  global
        .offset:         48
        .size:           8
        .value_kind:     global_buffer
      - .actual_access:  read_only
        .address_space:  global
        .offset:         56
        .size:           8
        .value_kind:     global_buffer
      - .offset:         64
        .size:           4
        .value_kind:     by_value
      - .actual_access:  read_only
        .address_space:  global
        .offset:         72
        .size:           8
        .value_kind:     global_buffer
      - .actual_access:  read_only
        .address_space:  global
        .offset:         80
        .size:           8
        .value_kind:     global_buffer
      - .actual_access:  read_only
        .address_space:  global
        .offset:         88
        .size:           8
        .value_kind:     global_buffer
      - .actual_access:  write_only
        .address_space:  global
        .offset:         96
        .size:           8
        .value_kind:     global_buffer
    .group_segment_fixed_size: 0
    .kernarg_segment_align: 8
    .kernarg_segment_size: 104
    .language:       OpenCL C
    .language_version:
      - 2
      - 0
    .max_flat_workgroup_size: 192
    .name:           fft_rtc_back_len2304_factors_6_6_4_4_4_wgs_192_tpt_192_halfLds_sp_op_CI_CI_unitstride_sbrr_C2R_dirReg
    .private_segment_fixed_size: 0
    .sgpr_count:     29
    .sgpr_spill_count: 0
    .symbol:         fft_rtc_back_len2304_factors_6_6_4_4_4_wgs_192_tpt_192_halfLds_sp_op_CI_CI_unitstride_sbrr_C2R_dirReg.kd
    .uniform_work_group_size: 1
    .uses_dynamic_stack: false
    .vgpr_count:     61
    .vgpr_spill_count: 0
    .wavefront_size: 32
    .workgroup_processor_mode: 1
amdhsa.target:   amdgcn-amd-amdhsa--gfx1030
amdhsa.version:
  - 1
  - 2
...

	.end_amdgpu_metadata
